;; amdgpu-corpus repo=zjin-lcf/HeCBench kind=compiled arch=gfx906 opt=O3
	.amdgcn_target "amdgcn-amd-amdhsa--gfx906"
	.amdhsa_code_object_version 6
	.text
	.protected	_Z10run_solverPKdPKbS0_PdPbPKjiiiij ; -- Begin function _Z10run_solverPKdPKbS0_PdPbPKjiiiij
	.globl	_Z10run_solverPKdPKbS0_PdPbPKjiiiij
	.p2align	8
	.type	_Z10run_solverPKdPKbS0_PdPbPKjiiiij,@function
_Z10run_solverPKdPKbS0_PdPbPKjiiiij:    ; @_Z10run_solverPKdPKbS0_PdPbPKjiiiij
; %bb.0:
	s_load_dword s0, s[4:5], 0x48
	s_load_dword s1, s[4:5], 0x40
	s_waitcnt lgkmcnt(0)
	s_mul_i32 s0, s0, s7
	s_add_i32 s0, s0, s6
	s_cmp_ge_u32 s0, s1
	s_cbranch_scc1 .LBB0_46
; %bb.1:
	s_load_dwordx8 s[16:23], s[4:5], 0x20
	s_load_dwordx8 s[8:15], s[4:5], 0x0
	s_mov_b32 s1, 0
	s_lshl_b64 s[0:1], s[0:1], 2
	v_lshlrev_b32_e32 v3, 2, v1
	s_waitcnt lgkmcnt(0)
	s_add_u32 s0, s18, s0
	s_addc_u32 s1, s19, s1
	s_load_dword s18, s[0:1], 0x0
	v_lshl_add_u32 v9, v2, 4, v3
	v_add_u32_e32 v11, v9, v0
	v_mov_b32_e32 v6, 0
	v_mov_b32_e32 v7, s13
	s_waitcnt lgkmcnt(0)
	s_lshl_b32 s19, s18, 6
	v_add_u32_e32 v5, s19, v11
	v_lshlrev_b64 v[3:4], 3, v[5:6]
	s_ashr_i32 s0, s20, 31
	v_add_co_u32_e32 v6, vcc, s12, v3
	v_addc_co_u32_e32 v7, vcc, v7, v4, vcc
	global_load_dwordx2 v[6:7], v[6:7], off
	s_lshr_b32 s0, s0, 30
	s_add_i32 s0, s20, s0
	s_ashr_i32 s20, s0, 2
	v_cvt_f32_u32_e32 v8, s20
	s_ashr_i32 s1, s21, 31
	s_lshr_b32 s1, s1, 30
	s_add_i32 s1, s21, s1
	v_rcp_iflag_f32_e32 v8, v8
	s_ashr_i32 s21, s1, 2
	s_sub_i32 s0, 0, s20
	s_sub_i32 s1, 0, s21
	v_mul_f32_e32 v8, 0x4f7ffffe, v8
	v_cvt_u32_f32_e32 v8, v8
	v_mul_u32_u24_e32 v14, 48, v1
	v_mul_u32_u24_e32 v13, 0x120, v0
	v_readfirstlane_b32 s2, v8
	v_cvt_f32_u32_e32 v8, s21
	s_mul_i32 s0, s0, s2
	s_mul_hi_u32 s0, s2, s0
	s_add_i32 s2, s2, s0
	v_rcp_iflag_f32_e32 v8, v8
	s_mul_hi_u32 s0, s18, s2
	s_mul_i32 s2, s0, s20
	s_sub_i32 s2, s18, s2
	s_add_i32 s3, s0, 1
	s_sub_i32 s4, s2, s20
	v_mul_f32_e32 v8, 0x4f7ffffe, v8
	s_cmp_ge_u32 s2, s20
	v_cvt_u32_f32_e32 v8, v8
	s_cselect_b32 s0, s3, s0
	s_cselect_b32 s2, s4, s2
	s_add_i32 s3, s0, 1
	s_cmp_ge_u32 s2, s20
	s_cselect_b32 s24, s3, s0
	v_readfirstlane_b32 s0, v8
	s_mul_i32 s1, s1, s0
	s_mul_hi_u32 s1, s0, s1
	s_add_i32 s0, s0, s1
	s_mul_hi_u32 s25, s24, s0
	s_movk_i32 s0, 0x120
	v_mad_u32_u24 v12, v0, s0, v14
	v_lshl_add_u32 v26, v2, 3, v12
	v_mov_b32_e32 v8, s11
	s_mul_i32 s0, s24, s20
	s_waitcnt vmcnt(0)
	ds_write_b64 v26, v[6:7] offset:344
	v_mov_b32_e32 v7, s9
	v_add_co_u32_e32 v6, vcc, s8, v3
	v_addc_co_u32_e32 v7, vcc, v7, v4, vcc
	v_add_co_u32_e32 v15, vcc, s10, v5
	v_addc_co_u32_e32 v16, vcc, 0, v8, vcc
	global_load_dwordx2 v[6:7], v[6:7], off
	s_sub_i32 s8, s18, s0
	global_load_ubyte v10, v[15:16], off
	v_cmp_lt_i32_e32 vcc, 2, v0
	s_mov_b64 s[0:1], 0
                                        ; implicit-def: $vgpr8
	s_and_saveexec_b64 s[2:3], vcc
	s_xor_b64 s[2:3], exec, s[2:3]
	s_cbranch_execnz .LBB0_32
; %bb.2:
	s_or_saveexec_b64 s[2:3], s[2:3]
	v_mov_b32_e32 v15, 0x5a0
	s_xor_b64 exec, exec, s[2:3]
	s_cbranch_execnz .LBB0_35
.LBB0_3:
	s_or_b64 exec, exec, s[2:3]
	s_and_saveexec_b64 s[2:3], s[0:1]
	s_cbranch_execz .LBB0_5
.LBB0_4:
	v_mov_b32_e32 v9, 0
	v_lshlrev_b64 v[8:9], 3, v[8:9]
	v_mov_b32_e32 v0, s13
	v_add_co_u32_e32 v8, vcc, s12, v8
	v_addc_co_u32_e32 v9, vcc, v0, v9, vcc
	global_load_dwordx2 v[8:9], v[8:9], off
	v_lshlrev_b32_e32 v0, 3, v2
	v_add3_u32 v0, v15, v14, v0
	s_waitcnt vmcnt(0)
	ds_write_b64 v0, v[8:9] offset:56
.LBB0_5:
	s_or_b64 exec, exec, s[2:3]
	s_mul_i32 s0, s25, s21
	s_sub_i32 s0, s24, s0
	s_add_i32 s1, s25, 1
	s_sub_i32 s2, s0, s21
	s_cmp_ge_u32 s0, s21
	s_cselect_b32 s1, s1, s25
	s_cselect_b32 s0, s2, s0
	s_add_i32 s2, s1, 1
	s_cmp_ge_u32 s0, s21
	s_cselect_b32 s8, s2, s1
	s_mul_i32 s0, s8, s21
	s_sub_i32 s9, s24, s0
	v_cmp_lt_i32_e32 vcc, 2, v1
	s_mov_b64 s[0:1], 0
                                        ; implicit-def: $vgpr0
	s_and_saveexec_b64 s[2:3], vcc
	s_xor_b64 s[2:3], exec, s[2:3]
	s_cbranch_execnz .LBB0_38
; %bb.6:
	s_or_saveexec_b64 s[2:3], s[2:3]
	v_mov_b32_e32 v8, 0x210
	s_xor_b64 exec, exec, s[2:3]
	s_cbranch_execnz .LBB0_41
.LBB0_7:
	s_or_b64 exec, exec, s[2:3]
	s_and_saveexec_b64 s[2:3], s[0:1]
	s_cbranch_execz .LBB0_9
.LBB0_8:
	v_mov_b32_e32 v1, 0
	v_lshlrev_b64 v[0:1], 3, v[0:1]
	v_mov_b32_e32 v9, s13
	v_add_co_u32_e32 v0, vcc, s12, v0
	v_addc_co_u32_e32 v1, vcc, v9, v1, vcc
	global_load_dwordx2 v[0:1], v[0:1], off
	v_lshlrev_b32_e32 v9, 3, v2
	v_add3_u32 v8, v13, v8, v9
	s_waitcnt vmcnt(0)
	ds_write_b64 v8, v[0:1] offset:8
.LBB0_9:
	s_or_b64 exec, exec, s[2:3]
	v_cmp_lt_i32_e32 vcc, 2, v2
	s_and_saveexec_b64 s[0:1], vcc
	s_xor_b64 s[0:1], exec, s[0:1]
	s_cbranch_execz .LBB0_13
; %bb.10:
	v_cmp_eq_u32_e32 vcc, 3, v2
	s_and_saveexec_b64 s[2:3], vcc
	s_cbranch_execz .LBB0_12
; %bb.11:
	s_ashr_i32 s4, s22, 31
	s_lshr_b32 s4, s4, 30
	s_add_i32 s4, s22, s4
	s_mul_i32 s5, s21, s20
	s_ashr_i32 s4, s4, 2
	s_add_i32 s5, s18, s5
	s_add_i32 s4, s4, -1
	s_lshl_b32 s6, s5, 6
	s_cmp_eq_u32 s8, s4
	s_cselect_b64 vcc, -1, 0
	v_subrev_u32_e32 v0, 48, v11
	s_and_b64 s[4:5], vcc, exec
	v_cndmask_b32_e32 v0, v0, v11, vcc
	s_cselect_b32 s4, s19, s6
	v_add_u32_e32 v0, s4, v0
	v_mov_b32_e32 v1, 0
	v_lshlrev_b64 v[0:1], 3, v[0:1]
	v_mov_b32_e32 v2, s13
	v_add_co_u32_e32 v0, vcc, s12, v0
	v_addc_co_u32_e32 v1, vcc, v2, v1, vcc
	global_load_dwordx2 v[0:1], v[0:1], off
	s_waitcnt vmcnt(0)
	ds_write_b64 v12, v[0:1] offset:376
.LBB0_12:
	s_or_b64 exec, exec, s[2:3]
                                        ; implicit-def: $vgpr2
                                        ; implicit-def: $vgpr11
                                        ; implicit-def: $vgpr12
.LBB0_13:
	s_andn2_saveexec_b64 s[0:1], s[0:1]
	s_cbranch_execz .LBB0_17
; %bb.14:
	v_cmp_eq_u32_e32 vcc, 0, v2
	s_and_saveexec_b64 s[2:3], vcc
	s_cbranch_execz .LBB0_16
; %bb.15:
	s_mul_i32 s4, s21, s20
	s_sub_i32 s4, s18, s4
	s_lshl_b32 s6, s4, 6
	s_cmp_gt_u32 s21, s24
	s_cselect_b64 vcc, -1, 0
	v_add_u32_e32 v0, 48, v11
	s_and_b64 s[4:5], vcc, exec
	v_cndmask_b32_e32 v0, v0, v11, vcc
	s_cselect_b32 s4, s19, s6
	v_add_u32_e32 v0, s4, v0
	v_mov_b32_e32 v1, 0
	v_lshlrev_b64 v[0:1], 3, v[0:1]
	v_mov_b32_e32 v2, s13
	v_add_co_u32_e32 v0, vcc, s12, v0
	v_addc_co_u32_e32 v1, vcc, v2, v1, vcc
	global_load_dwordx2 v[0:1], v[0:1], off
	s_waitcnt vmcnt(0)
	ds_write_b64 v12, v[0:1] offset:336
.LBB0_16:
	s_or_b64 exec, exec, s[2:3]
.LBB0_17:
	s_or_b64 exec, exec, s[0:1]
	s_cmp_lt_i32 s23, 1
	s_waitcnt vmcnt(0) lgkmcnt(0)
	s_barrier
	s_cbranch_scc1 .LBB0_44
; %bb.18:
	v_div_scale_f64 v[0:1], s[0:1], v[6:7], v[6:7], 1.0
	s_mov_b32 s6, 0
	s_mov_b32 s7, 0x40080000
	v_and_b32_e32 v2, 1, v10
	s_mov_b32 s8, 0x78b58c40
	v_cmp_eq_u32_e64 s[0:1], 1, v2
	s_mov_b32 s9, 0x4415af1d
	s_mov_b32 s22, 0xf800000
	v_mov_b32_e32 v2, 0x260
	s_mov_b32 s24, 0x40400000
	v_rcp_f64_e32 v[8:9], v[0:1]
	v_fma_f64 v[11:12], -v[0:1], v[8:9], 1.0
	v_fma_f64 v[8:9], v[8:9], v[11:12], v[8:9]
	v_div_scale_f64 v[11:12], vcc, 1.0, v[6:7], 1.0
	v_fma_f64 v[13:14], -v[0:1], v[8:9], 1.0
	v_fma_f64 v[8:9], v[8:9], v[13:14], v[8:9]
	v_mul_f64 v[13:14], v[11:12], v[8:9]
	v_fma_f64 v[0:1], -v[0:1], v[13:14], v[11:12]
	v_div_fmas_f64 v[0:1], v[0:1], v[8:9], v[13:14]
	v_cmp_lt_f64_e32 vcc, 0, v[6:7]
	v_div_fixup_f64 v[0:1], v[0:1], v[6:7], 1.0
	v_cndmask_b32_e32 v1, v7, v1, vcc
	v_cndmask_b32_e32 v0, v6, v0, vcc
	v_add_f64 v[6:7], v[0:1], v[0:1]
	v_mul_f64 v[8:9], v[0:1], s[6:7]
	v_mul_f64 v[6:7], v[0:1], v[6:7]
	;; [unrolled: 1-line block ×3, first 2 shown]
	s_branch .LBB0_20
.LBB0_19:                               ;   in Loop: Header=BB0_20 Depth=1
	s_or_b64 exec, exec, s[2:3]
	s_add_i32 s23, s23, -1
	s_cmp_eq_u32 s23, 0
	s_waitcnt lgkmcnt(0)
	s_barrier
	s_cbranch_scc1 .LBB0_45
.LBB0_20:                               ; =>This Inner Loop Header: Depth=1
	ds_read_b64 v[10:11], v26 offset:344
	s_waitcnt lgkmcnt(0)
	v_mov_b32_e32 v13, v11
	v_mov_b32_e32 v12, v10
	s_and_saveexec_b64 s[10:11], s[0:1]
	s_cbranch_execz .LBB0_30
; %bb.21:                               ;   in Loop: Header=BB0_20 Depth=1
	ds_read2_b64 v[12:15], v26 offset0:49 offset1:79
	ds_read2_b64 v[16:19], v26 offset0:7 offset1:37
	s_waitcnt lgkmcnt(1)
	v_max_f64 v[20:21], v[14:15], v[14:15]
	s_waitcnt lgkmcnt(0)
	v_max_f64 v[16:17], v[16:17], v[16:17]
	v_max_f64 v[22:23], v[12:13], v[12:13]
	;; [unrolled: 1-line block ×3, first 2 shown]
	ds_read2_b64 v[12:15], v26 offset0:42 offset1:44
	s_waitcnt lgkmcnt(0)
	v_max_f64 v[14:15], v[14:15], v[14:15]
	v_min_f64 v[16:17], v[16:17], v[20:21]
	v_min_f64 v[18:19], v[18:19], v[22:23]
	v_max_f64 v[12:13], v[12:13], v[12:13]
	v_cmp_lt_f64_e32 vcc, v[16:17], v[18:19]
	v_min_f64 v[22:23], v[12:13], v[14:15]
	v_mov_b32_e32 v13, s9
	v_mov_b32_e32 v12, s8
	v_cndmask_b32_e32 v25, v19, v17, vcc
	v_cndmask_b32_e32 v24, v18, v16, vcc
	v_cmp_lt_f64_e64 s[2:3], v[24:25], v[22:23]
	v_cndmask_b32_e64 v15, v23, v25, s[2:3]
	v_cndmask_b32_e64 v14, v22, v24, s[2:3]
	v_cmp_gt_f64_e64 s[4:5], s[8:9], v[14:15]
	s_and_saveexec_b64 s[12:13], s[4:5]
	s_cbranch_execz .LBB0_29
; %bb.22:                               ;   in Loop: Header=BB0_20 Depth=1
	v_cndmask_b32_e32 v21, v17, v19, vcc
	v_cndmask_b32_e32 v20, v16, v18, vcc
	v_cndmask_b32_e64 v23, v25, v23, s[2:3]
	v_cndmask_b32_e64 v22, v24, v22, s[2:3]
	v_cmp_lt_f64_e32 vcc, v[20:21], v[22:23]
	v_add_f64 v[12:13], v[0:1], v[14:15]
	v_cndmask_b32_e32 v19, v23, v21, vcc
	v_cndmask_b32_e32 v18, v22, v20, vcc
	v_cmp_gt_f64_e64 s[2:3], v[12:13], v[18:19]
	s_and_saveexec_b64 s[18:19], s[2:3]
	s_cbranch_execz .LBB0_28
; %bb.23:                               ;   in Loop: Header=BB0_20 Depth=1
	v_add_f64 v[16:17], v[18:19], -v[14:15]
	v_fma_f64 v[16:17], -v[16:17], v[16:17], v[6:7]
	v_cvt_f32_f64_e32 v16, v[16:17]
	v_mul_f32_e32 v17, 0x4f800000, v16
	v_cmp_gt_f32_e64 s[2:3], s22, v16
	v_cndmask_b32_e64 v24, v16, v17, s[2:3]
	v_sqrt_f32_e32 v25, v24
	v_add_f64 v[16:17], v[14:15], v[18:19]
	v_add_u32_e32 v27, -1, v25
	v_add_u32_e32 v28, 1, v25
	v_fma_f32 v29, -v27, v25, v24
	v_fma_f32 v30, -v28, v25, v24
	v_cmp_ge_f32_e64 s[4:5], 0, v29
	v_cndmask_b32_e64 v25, v25, v27, s[4:5]
	v_cmp_lt_f32_e64 s[4:5], 0, v30
	v_cndmask_b32_e64 v25, v25, v28, s[4:5]
	v_mul_f32_e32 v27, 0x37800000, v25
	v_cndmask_b32_e64 v25, v25, v27, s[2:3]
	v_cmp_class_f32_e64 s[2:3], v24, v2
	v_cndmask_b32_e64 v24, v25, v24, s[2:3]
	v_cvt_f64_f32_e32 v[24:25], v24
	v_add_f64 v[16:17], v[16:17], v[24:25]
	v_mul_f64 v[24:25], v[16:17], 0.5
	v_cndmask_b32_e32 v17, v21, v23, vcc
	v_cndmask_b32_e32 v16, v20, v22, vcc
	v_cmp_gt_f64_e64 s[2:3], v[24:25], v[18:19]
	v_cndmask_b32_e64 v13, v13, v25, s[2:3]
	v_cndmask_b32_e64 v12, v12, v24, s[2:3]
	v_cmp_gt_f64_e32 vcc, v[12:13], v[16:17]
	s_and_saveexec_b64 s[20:21], vcc
	s_cbranch_execz .LBB0_27
; %bb.24:                               ;   in Loop: Header=BB0_20 Depth=1
	v_add_f64 v[20:21], v[20:21], v[22:23]
	v_add_f64 v[22:23], v[14:15], -v[18:19]
	v_add_f64 v[24:25], v[18:19], -v[16:17]
	;; [unrolled: 1-line block ×3, first 2 shown]
	v_add_f64 v[20:21], v[14:15], v[20:21]
	v_mul_f64 v[18:19], v[18:19], v[22:23]
	v_div_scale_f64 v[22:23], s[2:3], s[6:7], s[6:7], v[20:21]
	v_fma_f64 v[18:19], v[16:17], v[24:25], v[18:19]
	v_fma_f64 v[14:15], v[14:15], v[27:28], v[18:19]
	v_rcp_f64_e32 v[18:19], v[22:23]
	v_fma_f64 v[14:15], v[14:15], 2.0, v[8:9]
	v_cvt_f32_f64_e32 v24, v[14:15]
	v_mul_f32_e32 v25, 0x4f800000, v24
	v_cmp_gt_f32_e32 vcc, s22, v24
	v_fma_f64 v[14:15], -v[22:23], v[18:19], 1.0
	v_cndmask_b32_e32 v27, v24, v25, vcc
	v_sqrt_f32_e32 v24, v27
	v_add_u32_e32 v25, -1, v24
	v_fma_f32 v29, -v25, v24, v27
	v_fma_f64 v[14:15], v[18:19], v[14:15], v[18:19]
	v_add_u32_e32 v28, 1, v24
	v_cmp_ge_f32_e64 s[4:5], 0, v29
	v_div_scale_f64 v[18:19], s[2:3], v[20:21], s[6:7], v[20:21]
	v_fma_f32 v30, -v28, v24, v27
	v_cndmask_b32_e64 v29, v24, v25, s[4:5]
	v_cmp_lt_f32_e64 s[4:5], 0, v30
	v_fma_f64 v[24:25], -v[22:23], v[14:15], 1.0
	v_cndmask_b32_e64 v28, v29, v28, s[4:5]
	v_mul_f32_e32 v29, 0x37800000, v28
	v_cndmask_b32_e32 v28, v28, v29, vcc
	v_cmp_class_f32_e32 vcc, v27, v2
	v_cndmask_b32_e32 v27, v28, v27, vcc
	v_div_scale_f32 v28, s[4:5], s24, s24, v27
	v_fma_f64 v[14:15], v[14:15], v[24:25], v[14:15]
	v_div_scale_f32 v29, s[4:5], v27, s24, v27
	s_mov_b64 vcc, s[2:3]
	v_mul_f64 v[24:25], v[18:19], v[14:15]
	v_rcp_f32_e32 v30, v28
	v_fma_f64 v[18:19], -v[22:23], v[24:25], v[18:19]
	v_fma_f32 v22, -v28, v30, 1.0
	v_fmac_f32_e32 v30, v22, v30
	v_mul_f32_e32 v22, v29, v30
	v_fma_f32 v23, -v28, v22, v29
	v_fmac_f32_e32 v22, v23, v30
	v_div_fmas_f64 v[14:15], v[18:19], v[14:15], v[24:25]
	v_fma_f32 v18, -v28, v22, v29
	s_mov_b64 vcc, s[4:5]
	v_div_fmas_f32 v18, v18, v30, v22
	v_div_fixup_f64 v[14:15], v[14:15], s[6:7], v[20:21]
	v_div_fixup_f32 v18, v18, s24, v27
	v_cvt_f64_f32_e32 v[18:19], v18
	v_add_f64 v[14:15], v[14:15], v[18:19]
	v_cmp_gt_f64_e32 vcc, v[14:15], v[16:17]
	s_and_saveexec_b64 s[2:3], vcc
; %bb.25:                               ;   in Loop: Header=BB0_20 Depth=1
	v_mov_b32_e32 v12, v14
	v_mov_b32_e32 v13, v15
; %bb.26:                               ;   in Loop: Header=BB0_20 Depth=1
	s_or_b64 exec, exec, s[2:3]
.LBB0_27:                               ;   in Loop: Header=BB0_20 Depth=1
	s_or_b64 exec, exec, s[20:21]
.LBB0_28:                               ;   in Loop: Header=BB0_20 Depth=1
	s_or_b64 exec, exec, s[18:19]
.LBB0_29:                               ;   in Loop: Header=BB0_20 Depth=1
	s_or_b64 exec, exec, s[12:13]
	v_max_f64 v[14:15], v[10:11], v[10:11]
	v_max_f64 v[12:13], v[12:13], v[12:13]
	v_min_f64 v[12:13], v[12:13], v[14:15]
.LBB0_30:                               ;   in Loop: Header=BB0_20 Depth=1
	s_or_b64 exec, exec, s[10:11]
	s_barrier
	s_and_saveexec_b64 s[2:3], s[0:1]
	s_cbranch_execz .LBB0_19
; %bb.31:                               ;   in Loop: Header=BB0_20 Depth=1
	ds_write_b64 v26, v[12:13] offset:344
	s_branch .LBB0_19
.LBB0_32:
	v_cmp_eq_u32_e32 vcc, 3, v0
                                        ; implicit-def: $vgpr8
	s_and_saveexec_b64 s[4:5], vcc
	s_cbranch_execz .LBB0_34
; %bb.33:
	s_add_i32 s6, s20, -1
	s_add_i32 s9, s19, 64
	s_cmp_eq_u32 s8, s6
	s_cselect_b64 vcc, -1, 0
	v_add_u32_e32 v0, -3, v11
	s_and_b64 s[6:7], vcc, exec
	v_cndmask_b32_e32 v0, v0, v11, vcc
	s_cselect_b32 s6, s19, s9
	s_mov_b64 s[0:1], exec
	v_add_u32_e32 v8, s6, v0
.LBB0_34:
	s_or_b64 exec, exec, s[4:5]
	s_and_b64 s[0:1], s[0:1], exec
                                        ; implicit-def: $vgpr0
                                        ; implicit-def: $vgpr9
	s_or_saveexec_b64 s[2:3], s[2:3]
	v_mov_b32_e32 v15, 0x5a0
	s_xor_b64 exec, exec, s[2:3]
	s_cbranch_execz .LBB0_3
.LBB0_35:
	v_cmp_eq_u32_e32 vcc, 0, v0
	s_mov_b64 s[6:7], s[0:1]
                                        ; implicit-def: $vgpr8
	s_and_saveexec_b64 s[4:5], vcc
; %bb.36:
	s_sub_i32 s9, s19, 64
	s_cmp_eq_u32 s8, 0
	s_cselect_b64 vcc, -1, 0
	v_or_b32_e32 v0, 3, v9
	s_and_b64 s[6:7], vcc, exec
	v_cndmask_b32_e32 v0, v0, v11, vcc
	s_cselect_b32 s6, s19, s9
	v_add_u32_e32 v8, s6, v0
	s_or_b64 s[6:7], s[0:1], exec
; %bb.37:
	s_or_b64 exec, exec, s[4:5]
	s_andn2_b64 s[0:1], s[0:1], exec
	s_and_b64 s[4:5], s[6:7], exec
	v_mov_b32_e32 v15, 0
	s_or_b64 s[0:1], s[0:1], s[4:5]
	s_or_b64 exec, exec, s[2:3]
	s_and_saveexec_b64 s[2:3], s[0:1]
	s_cbranch_execnz .LBB0_4
	s_branch .LBB0_5
.LBB0_38:
	v_cmp_eq_u32_e32 vcc, 3, v1
                                        ; implicit-def: $vgpr0
	s_and_saveexec_b64 s[4:5], vcc
	s_cbranch_execz .LBB0_40
; %bb.39:
	s_add_i32 s7, s18, s20
	s_add_i32 s6, s21, -1
	s_lshl_b32 s10, s7, 6
	s_cmp_eq_u32 s9, s6
	s_cselect_b64 vcc, -1, 0
	v_add_u32_e32 v0, -12, v11
	s_and_b64 s[6:7], vcc, exec
	v_cndmask_b32_e32 v0, v0, v11, vcc
	s_cselect_b32 s6, s19, s10
	s_mov_b64 s[0:1], exec
	v_add_u32_e32 v0, s6, v0
.LBB0_40:
	s_or_b64 exec, exec, s[4:5]
	s_and_b64 s[0:1], s[0:1], exec
                                        ; implicit-def: $vgpr1
	s_or_saveexec_b64 s[2:3], s[2:3]
	v_mov_b32_e32 v8, 0x210
	s_xor_b64 exec, exec, s[2:3]
	s_cbranch_execz .LBB0_7
.LBB0_41:
	v_cmp_eq_u32_e32 vcc, 0, v1
	s_mov_b64 s[6:7], s[0:1]
                                        ; implicit-def: $vgpr0
	s_and_saveexec_b64 s[4:5], vcc
	s_cbranch_execz .LBB0_43
; %bb.42:
	s_sub_i32 s6, s18, s20
	s_lshl_b32 s10, s6, 6
	s_cmp_eq_u32 s9, 0
	s_cselect_b64 vcc, -1, 0
	v_add_u32_e32 v0, 12, v11
	s_and_b64 s[6:7], vcc, exec
	v_cndmask_b32_e32 v0, v0, v11, vcc
	s_cselect_b32 s6, s19, s10
	v_add_u32_e32 v0, s6, v0
	s_or_b64 s[6:7], s[0:1], exec
.LBB0_43:
	s_or_b64 exec, exec, s[4:5]
	s_andn2_b64 s[0:1], s[0:1], exec
	s_and_b64 s[4:5], s[6:7], exec
	v_mov_b32_e32 v8, 0x120
	s_or_b64 s[0:1], s[0:1], s[4:5]
	s_or_b64 exec, exec, s[2:3]
	s_and_saveexec_b64 s[2:3], s[0:1]
	s_cbranch_execnz .LBB0_8
	s_branch .LBB0_9
.LBB0_44:
                                        ; implicit-def: $vgpr12_vgpr13
                                        ; implicit-def: $vgpr10_vgpr11
.LBB0_45:
	v_add_f64 v[0:1], v[10:11], -v[12:13]
	s_mov_b32 s0, 0x97d889bc
	v_mov_b32_e32 v2, s17
	v_add_co_u32_e32 v5, vcc, s16, v5
	s_mov_b32 s1, 0x3c9cd2b2
	v_addc_co_u32_e32 v6, vcc, 0, v2, vcc
	v_cmp_gt_f64_e32 vcc, s[0:1], v[0:1]
	v_mov_b32_e32 v1, s15
	v_cndmask_b32_e64 v0, 0, 1, vcc
	global_store_byte v[5:6], v0, off
	v_add_co_u32_e32 v0, vcc, s14, v3
	v_addc_co_u32_e32 v1, vcc, v1, v4, vcc
	global_store_dwordx2 v[0:1], v[12:13], off
.LBB0_46:
	s_endpgm
	.section	.rodata,"a",@progbits
	.p2align	6, 0x0
	.amdhsa_kernel _Z10run_solverPKdPKbS0_PdPbPKjiiiij
		.amdhsa_group_segment_fixed_size 1728
		.amdhsa_private_segment_fixed_size 0
		.amdhsa_kernarg_size 328
		.amdhsa_user_sgpr_count 6
		.amdhsa_user_sgpr_private_segment_buffer 1
		.amdhsa_user_sgpr_dispatch_ptr 0
		.amdhsa_user_sgpr_queue_ptr 0
		.amdhsa_user_sgpr_kernarg_segment_ptr 1
		.amdhsa_user_sgpr_dispatch_id 0
		.amdhsa_user_sgpr_flat_scratch_init 0
		.amdhsa_user_sgpr_private_segment_size 0
		.amdhsa_uses_dynamic_stack 0
		.amdhsa_system_sgpr_private_segment_wavefront_offset 0
		.amdhsa_system_sgpr_workgroup_id_x 1
		.amdhsa_system_sgpr_workgroup_id_y 1
		.amdhsa_system_sgpr_workgroup_id_z 0
		.amdhsa_system_sgpr_workgroup_info 0
		.amdhsa_system_vgpr_workitem_id 2
		.amdhsa_next_free_vgpr 31
		.amdhsa_next_free_sgpr 26
		.amdhsa_reserve_vcc 1
		.amdhsa_reserve_flat_scratch 0
		.amdhsa_float_round_mode_32 0
		.amdhsa_float_round_mode_16_64 0
		.amdhsa_float_denorm_mode_32 3
		.amdhsa_float_denorm_mode_16_64 3
		.amdhsa_dx10_clamp 1
		.amdhsa_ieee_mode 1
		.amdhsa_fp16_overflow 0
		.amdhsa_exception_fp_ieee_invalid_op 0
		.amdhsa_exception_fp_denorm_src 0
		.amdhsa_exception_fp_ieee_div_zero 0
		.amdhsa_exception_fp_ieee_overflow 0
		.amdhsa_exception_fp_ieee_underflow 0
		.amdhsa_exception_fp_ieee_inexact 0
		.amdhsa_exception_int_div_zero 0
	.end_amdhsa_kernel
	.text
.Lfunc_end0:
	.size	_Z10run_solverPKdPKbS0_PdPbPKjiiiij, .Lfunc_end0-_Z10run_solverPKdPKbS0_PdPbPKjiiiij
                                        ; -- End function
	.set _Z10run_solverPKdPKbS0_PdPbPKjiiiij.num_vgpr, 31
	.set _Z10run_solverPKdPKbS0_PdPbPKjiiiij.num_agpr, 0
	.set _Z10run_solverPKdPKbS0_PdPbPKjiiiij.numbered_sgpr, 26
	.set _Z10run_solverPKdPKbS0_PdPbPKjiiiij.num_named_barrier, 0
	.set _Z10run_solverPKdPKbS0_PdPbPKjiiiij.private_seg_size, 0
	.set _Z10run_solverPKdPKbS0_PdPbPKjiiiij.uses_vcc, 1
	.set _Z10run_solverPKdPKbS0_PdPbPKjiiiij.uses_flat_scratch, 0
	.set _Z10run_solverPKdPKbS0_PdPbPKjiiiij.has_dyn_sized_stack, 0
	.set _Z10run_solverPKdPKbS0_PdPbPKjiiiij.has_recursion, 0
	.set _Z10run_solverPKdPKbS0_PdPbPKjiiiij.has_indirect_call, 0
	.section	.AMDGPU.csdata,"",@progbits
; Kernel info:
; codeLenInByte = 2468
; TotalNumSgprs: 30
; NumVgprs: 31
; ScratchSize: 0
; MemoryBound: 0
; FloatMode: 240
; IeeeMode: 1
; LDSByteSize: 1728 bytes/workgroup (compile time only)
; SGPRBlocks: 3
; VGPRBlocks: 7
; NumSGPRsForWavesPerEU: 30
; NumVGPRsForWavesPerEU: 31
; Occupancy: 8
; WaveLimiterHint : 1
; COMPUTE_PGM_RSRC2:SCRATCH_EN: 0
; COMPUTE_PGM_RSRC2:USER_SGPR: 6
; COMPUTE_PGM_RSRC2:TRAP_HANDLER: 0
; COMPUTE_PGM_RSRC2:TGID_X_EN: 1
; COMPUTE_PGM_RSRC2:TGID_Y_EN: 1
; COMPUTE_PGM_RSRC2:TGID_Z_EN: 0
; COMPUTE_PGM_RSRC2:TIDIG_COMP_CNT: 2
	.text
	.protected	_Z13run_reductionPKbPbPKjj ; -- Begin function _Z13run_reductionPKbPbPKjj
	.globl	_Z13run_reductionPKbPbPKjj
	.p2align	8
	.type	_Z13run_reductionPKbPbPKjj,@function
_Z13run_reductionPKbPbPKjj:             ; @_Z13run_reductionPKbPbPKjj
; %bb.0:
	s_load_dword s0, s[4:5], 0x20
	s_load_dword s1, s[4:5], 0x18
	s_waitcnt lgkmcnt(0)
	s_mul_i32 s0, s0, s7
	s_add_i32 s0, s0, s6
	s_cmp_ge_u32 s0, s1
	s_cbranch_scc1 .LBB1_15
; %bb.1:
	s_load_dwordx2 s[2:3], s[4:5], 0x10
	s_mov_b32 s1, 0
	s_lshl_b64 s[0:1], s[0:1], 2
	v_lshlrev_b32_e32 v2, 4, v2
	v_lshlrev_b32_e32 v1, 2, v1
	s_waitcnt lgkmcnt(0)
	s_add_u32 s0, s2, s0
	s_addc_u32 s1, s3, s1
	s_load_dword s2, s[0:1], 0x0
	s_load_dwordx2 s[6:7], s[4:5], 0x0
	v_add3_u32 v0, v1, v0, v2
	v_cmp_gt_u32_e32 vcc, 32, v0
	s_waitcnt lgkmcnt(0)
	v_lshl_add_u32 v1, s2, 6, v0
	v_add_u32_e32 v2, 32, v1
	global_load_ubyte v3, v1, s[6:7]
	global_load_ubyte v4, v2, s[6:7]
	s_waitcnt vmcnt(1)
	ds_write_b8 v0, v3
	s_waitcnt vmcnt(0)
	ds_write_b8 v0, v4 offset:32
	s_waitcnt lgkmcnt(0)
	s_barrier
	s_and_saveexec_b64 s[0:1], vcc
	s_cbranch_execz .LBB1_3
; %bb.2:
	ds_read_u8 v1, v0
	ds_read_u8 v2, v0 offset:32
	s_waitcnt lgkmcnt(0)
	v_and_b32_e32 v1, v2, v1
	ds_write_b8 v0, v1
.LBB1_3:
	s_or_b64 exec, exec, s[0:1]
	v_cmp_gt_u32_e32 vcc, 16, v0
	s_waitcnt lgkmcnt(0)
	s_barrier
	s_and_saveexec_b64 s[0:1], vcc
	s_cbranch_execz .LBB1_5
; %bb.4:
	ds_read_u8 v1, v0
	ds_read_u8 v2, v0 offset:16
	s_waitcnt lgkmcnt(0)
	v_and_b32_e32 v1, v2, v1
	ds_write_b8 v0, v1
.LBB1_5:
	s_or_b64 exec, exec, s[0:1]
	v_cmp_gt_u32_e32 vcc, 8, v0
	s_waitcnt lgkmcnt(0)
	s_barrier
	s_and_saveexec_b64 s[0:1], vcc
	s_cbranch_execz .LBB1_7
; %bb.6:
	ds_read_u8 v1, v0
	ds_read_u8 v2, v0 offset:8
	s_waitcnt lgkmcnt(0)
	v_and_b32_e32 v1, v2, v1
	ds_write_b8 v0, v1
.LBB1_7:
	s_or_b64 exec, exec, s[0:1]
	v_cmp_gt_u32_e32 vcc, 4, v0
	s_waitcnt lgkmcnt(0)
	s_barrier
	s_and_saveexec_b64 s[0:1], vcc
	s_cbranch_execz .LBB1_9
; %bb.8:
	ds_read_u8 v1, v0
	ds_read_u8 v2, v0 offset:4
	s_waitcnt lgkmcnt(0)
	v_and_b32_e32 v1, v2, v1
	ds_write_b8 v0, v1
.LBB1_9:
	s_or_b64 exec, exec, s[0:1]
	v_cmp_gt_u32_e32 vcc, 2, v0
	s_waitcnt lgkmcnt(0)
	s_barrier
	s_and_saveexec_b64 s[0:1], vcc
	s_cbranch_execz .LBB1_11
; %bb.10:
	ds_read_u8 v1, v0
	ds_read_u8 v2, v0 offset:2
	s_waitcnt lgkmcnt(0)
	v_and_b32_e32 v1, v2, v1
	ds_write_b8 v0, v1
.LBB1_11:
	s_or_b64 exec, exec, s[0:1]
	v_cmp_eq_u32_e32 vcc, 0, v0
	s_waitcnt lgkmcnt(0)
	s_barrier
	s_and_saveexec_b64 s[0:1], vcc
	s_cbranch_execz .LBB1_13
; %bb.12:
	ds_read_u8 v1, v0
	ds_read_u8 v2, v0 offset:1
	s_waitcnt lgkmcnt(0)
	v_and_b32_e32 v1, v2, v1
	ds_write_b8 v0, v1
.LBB1_13:
	s_or_b64 exec, exec, s[0:1]
	s_waitcnt lgkmcnt(0)
	s_barrier
	s_and_saveexec_b64 s[0:1], vcc
	s_cbranch_execz .LBB1_15
; %bb.14:
	v_mov_b32_e32 v0, 0
	ds_read_u8 v0, v0
	s_load_dwordx2 s[0:1], s[4:5], 0x8
	v_mov_b32_e32 v1, s2
	s_waitcnt lgkmcnt(0)
	v_and_b32_e32 v0, 1, v0
	v_cmp_eq_u32_e32 vcc, 1, v0
	s_xor_b64 s[4:5], vcc, -1
	v_cndmask_b32_e64 v0, 0, 1, s[4:5]
	global_store_byte v1, v0, s[0:1]
.LBB1_15:
	s_endpgm
	.section	.rodata,"a",@progbits
	.p2align	6, 0x0
	.amdhsa_kernel _Z13run_reductionPKbPbPKjj
		.amdhsa_group_segment_fixed_size 64
		.amdhsa_private_segment_fixed_size 0
		.amdhsa_kernarg_size 288
		.amdhsa_user_sgpr_count 6
		.amdhsa_user_sgpr_private_segment_buffer 1
		.amdhsa_user_sgpr_dispatch_ptr 0
		.amdhsa_user_sgpr_queue_ptr 0
		.amdhsa_user_sgpr_kernarg_segment_ptr 1
		.amdhsa_user_sgpr_dispatch_id 0
		.amdhsa_user_sgpr_flat_scratch_init 0
		.amdhsa_user_sgpr_private_segment_size 0
		.amdhsa_uses_dynamic_stack 0
		.amdhsa_system_sgpr_private_segment_wavefront_offset 0
		.amdhsa_system_sgpr_workgroup_id_x 1
		.amdhsa_system_sgpr_workgroup_id_y 1
		.amdhsa_system_sgpr_workgroup_id_z 0
		.amdhsa_system_sgpr_workgroup_info 0
		.amdhsa_system_vgpr_workitem_id 2
		.amdhsa_next_free_vgpr 5
		.amdhsa_next_free_sgpr 8
		.amdhsa_reserve_vcc 1
		.amdhsa_reserve_flat_scratch 0
		.amdhsa_float_round_mode_32 0
		.amdhsa_float_round_mode_16_64 0
		.amdhsa_float_denorm_mode_32 3
		.amdhsa_float_denorm_mode_16_64 3
		.amdhsa_dx10_clamp 1
		.amdhsa_ieee_mode 1
		.amdhsa_fp16_overflow 0
		.amdhsa_exception_fp_ieee_invalid_op 0
		.amdhsa_exception_fp_denorm_src 0
		.amdhsa_exception_fp_ieee_div_zero 0
		.amdhsa_exception_fp_ieee_overflow 0
		.amdhsa_exception_fp_ieee_underflow 0
		.amdhsa_exception_fp_ieee_inexact 0
		.amdhsa_exception_int_div_zero 0
	.end_amdhsa_kernel
	.text
.Lfunc_end1:
	.size	_Z13run_reductionPKbPbPKjj, .Lfunc_end1-_Z13run_reductionPKbPbPKjj
                                        ; -- End function
	.set _Z13run_reductionPKbPbPKjj.num_vgpr, 5
	.set _Z13run_reductionPKbPbPKjj.num_agpr, 0
	.set _Z13run_reductionPKbPbPKjj.numbered_sgpr, 8
	.set _Z13run_reductionPKbPbPKjj.num_named_barrier, 0
	.set _Z13run_reductionPKbPbPKjj.private_seg_size, 0
	.set _Z13run_reductionPKbPbPKjj.uses_vcc, 1
	.set _Z13run_reductionPKbPbPKjj.uses_flat_scratch, 0
	.set _Z13run_reductionPKbPbPKjj.has_dyn_sized_stack, 0
	.set _Z13run_reductionPKbPbPKjj.has_recursion, 0
	.set _Z13run_reductionPKbPbPKjj.has_indirect_call, 0
	.section	.AMDGPU.csdata,"",@progbits
; Kernel info:
; codeLenInByte = 564
; TotalNumSgprs: 12
; NumVgprs: 5
; ScratchSize: 0
; MemoryBound: 0
; FloatMode: 240
; IeeeMode: 1
; LDSByteSize: 64 bytes/workgroup (compile time only)
; SGPRBlocks: 1
; VGPRBlocks: 1
; NumSGPRsForWavesPerEU: 12
; NumVGPRsForWavesPerEU: 5
; Occupancy: 10
; WaveLimiterHint : 1
; COMPUTE_PGM_RSRC2:SCRATCH_EN: 0
; COMPUTE_PGM_RSRC2:USER_SGPR: 6
; COMPUTE_PGM_RSRC2:TRAP_HANDLER: 0
; COMPUTE_PGM_RSRC2:TGID_X_EN: 1
; COMPUTE_PGM_RSRC2:TGID_Y_EN: 1
; COMPUTE_PGM_RSRC2:TGID_Z_EN: 0
; COMPUTE_PGM_RSRC2:TIDIG_COMP_CNT: 2
	.text
	.protected	_Z18run_check_neighborPKdPKbS0_PdPbPKjiiijj ; -- Begin function _Z18run_check_neighborPKdPKbS0_PdPbPKjiiijj
	.globl	_Z18run_check_neighborPKdPKbS0_PdPbPKjiiijj
	.p2align	8
	.type	_Z18run_check_neighborPKdPKbS0_PdPbPKjiiijj,@function
_Z18run_check_neighborPKdPKbS0_PdPbPKjiiijj: ; @_Z18run_check_neighborPKdPKbS0_PdPbPKjiiijj
; %bb.0:
	s_load_dword s0, s[4:5], 0x48
	s_load_dword s1, s[4:5], 0x40
	s_waitcnt lgkmcnt(0)
	s_mul_i32 s0, s0, s7
	s_add_i32 s6, s0, s6
	s_cmp_ge_u32 s6, s1
	s_cbranch_scc1 .LBB2_31
; %bb.1:
	s_load_dwordx2 s[0:1], s[4:5], 0x28
	s_load_dwordx4 s[8:11], s[4:5], 0x10
	s_mov_b32 s7, 0
	s_lshl_b64 s[2:3], s[6:7], 2
	v_lshlrev_b32_e32 v3, 2, v1
	s_waitcnt lgkmcnt(0)
	s_add_u32 s12, s0, s2
	s_addc_u32 s13, s1, s3
	s_load_dword s17, s[12:13], 0x0
	s_load_dwordx4 s[0:3], s[4:5], 0x30
	v_lshl_add_u32 v9, v2, 4, v3
	v_add_u32_e32 v10, v9, v0
	s_mov_b64 s[12:13], -1
	s_waitcnt lgkmcnt(0)
	s_lshl_b32 s16, s17, 6
	s_cmp_ge_u32 s6, s3
	v_add_u32_e32 v3, s16, v10
	s_cbranch_scc0 .LBB2_29
; %bb.2:
	v_mov_b32_e32 v4, 0
	v_lshlrev_b64 v[4:5], 3, v[3:4]
	v_mov_b32_e32 v7, s9
	v_add_co_u32_e32 v6, vcc, s8, v4
	v_addc_co_u32_e32 v7, vcc, v7, v5, vcc
	global_load_dwordx2 v[6:7], v[6:7], off
	s_ashr_i32 s3, s0, 31
	s_lshr_b32 s3, s3, 30
	s_add_i32 s0, s0, s3
	s_ashr_i32 s18, s0, 2
	v_cvt_f32_u32_e32 v8, s18
	s_ashr_i32 s3, s1, 31
	s_lshr_b32 s3, s3, 30
	s_add_i32 s1, s1, s3
	v_rcp_iflag_f32_e32 v8, v8
	s_ashr_i32 s19, s1, 2
	s_sub_i32 s0, 0, s18
	s_load_dwordx4 s[12:15], s[4:5], 0x0
	s_load_dwordx2 s[6:7], s[4:5], 0x20
	v_mul_f32_e32 v8, 0x4f7ffffe, v8
	v_cvt_u32_f32_e32 v8, v8
	s_sub_i32 s1, 0, s19
	v_mul_u32_u24_e32 v16, 48, v1
	v_mul_u32_u24_e32 v14, 0x120, v0
	v_readfirstlane_b32 s3, v8
	v_cvt_f32_u32_e32 v8, s19
	s_mul_i32 s0, s0, s3
	s_mul_hi_u32 s0, s3, s0
	s_add_i32 s3, s3, s0
	v_rcp_iflag_f32_e32 v8, v8
	s_mul_hi_u32 s0, s17, s3
	s_mul_i32 s3, s0, s18
	s_sub_i32 s3, s17, s3
	s_add_i32 s4, s0, 1
	s_sub_i32 s5, s3, s18
	v_mul_f32_e32 v8, 0x4f7ffffe, v8
	s_cmp_ge_u32 s3, s18
	v_cvt_u32_f32_e32 v8, v8
	s_cselect_b32 s0, s4, s0
	s_cselect_b32 s3, s5, s3
	s_add_i32 s4, s0, 1
	s_cmp_ge_u32 s3, s18
	s_cselect_b32 s20, s4, s0
	v_readfirstlane_b32 s0, v8
	s_mul_i32 s1, s1, s0
	s_mul_hi_u32 s1, s0, s1
	s_add_i32 s0, s0, s1
	s_mul_hi_u32 s3, s20, s0
	s_movk_i32 s0, 0x120
	v_mad_u32_u24 v12, v0, s0, v16
	v_lshl_add_u32 v11, v2, 3, v12
	s_waitcnt lgkmcnt(0)
	v_mov_b32_e32 v8, s15
	s_mul_i32 s0, s20, s18
	s_sub_i32 s21, s17, s0
	s_mov_b64 s[0:1], 0
	s_waitcnt vmcnt(0)
	ds_write_b64 v11, v[6:7] offset:344
	v_mov_b32_e32 v7, s13
	v_add_co_u32_e32 v6, vcc, s12, v4
	v_addc_co_u32_e32 v7, vcc, v7, v5, vcc
	v_add_co_u32_e32 v17, vcc, s14, v3
	v_addc_co_u32_e32 v18, vcc, 0, v8, vcc
	global_load_dwordx2 v[6:7], v[6:7], off
	v_cmp_lt_i32_e32 vcc, 2, v0
	global_load_ubyte v13, v[17:18], off
                                        ; implicit-def: $vgpr8
	s_and_saveexec_b64 s[4:5], vcc
	s_xor_b64 s[4:5], exec, s[4:5]
	s_cbranch_execnz .LBB2_32
; %bb.3:
	s_or_saveexec_b64 s[4:5], s[4:5]
	v_mov_b32_e32 v17, 0x5a0
	s_xor_b64 exec, exec, s[4:5]
	s_cbranch_execnz .LBB2_35
.LBB2_4:
	s_or_b64 exec, exec, s[4:5]
	v_lshlrev_b32_e32 v15, 3, v2
	s_and_saveexec_b64 s[4:5], s[0:1]
	s_cbranch_execz .LBB2_6
.LBB2_5:
	v_mov_b32_e32 v9, 0
	v_lshlrev_b64 v[8:9], 3, v[8:9]
	v_mov_b32_e32 v0, s9
	v_add_co_u32_e32 v8, vcc, s8, v8
	v_addc_co_u32_e32 v9, vcc, v0, v9, vcc
	global_load_dwordx2 v[8:9], v[8:9], off
	v_add3_u32 v0, v17, v16, v15
	s_waitcnt vmcnt(0)
	ds_write_b64 v0, v[8:9] offset:56
.LBB2_6:
	s_or_b64 exec, exec, s[4:5]
	s_mul_i32 s0, s3, s19
	s_sub_i32 s0, s20, s0
	s_add_i32 s1, s3, 1
	s_sub_i32 s4, s0, s19
	s_cmp_ge_u32 s0, s19
	s_cselect_b32 s1, s1, s3
	s_cselect_b32 s0, s4, s0
	s_add_i32 s3, s1, 1
	s_cmp_ge_u32 s0, s19
	s_cselect_b32 s3, s3, s1
	s_mul_i32 s0, s3, s19
	s_sub_i32 s21, s20, s0
	v_cmp_lt_i32_e32 vcc, 2, v1
	s_mov_b64 s[0:1], 0
                                        ; implicit-def: $vgpr0
	s_and_saveexec_b64 s[4:5], vcc
	s_xor_b64 s[4:5], exec, s[4:5]
	s_cbranch_execnz .LBB2_38
; %bb.7:
	s_or_saveexec_b64 s[4:5], s[4:5]
	v_mov_b32_e32 v8, 0x210
	s_xor_b64 exec, exec, s[4:5]
	s_cbranch_execnz .LBB2_41
.LBB2_8:
	s_or_b64 exec, exec, s[4:5]
	s_and_saveexec_b64 s[4:5], s[0:1]
	s_cbranch_execz .LBB2_10
.LBB2_9:
	v_mov_b32_e32 v1, 0
	v_lshlrev_b64 v[0:1], 3, v[0:1]
	v_mov_b32_e32 v9, s9
	v_add_co_u32_e32 v0, vcc, s8, v0
	v_addc_co_u32_e32 v1, vcc, v9, v1, vcc
	global_load_dwordx2 v[0:1], v[0:1], off
	v_add3_u32 v8, v14, v8, v15
	s_waitcnt vmcnt(0)
	ds_write_b64 v8, v[0:1] offset:8
.LBB2_10:
	s_or_b64 exec, exec, s[4:5]
	v_cmp_lt_i32_e32 vcc, 2, v2
	s_and_saveexec_b64 s[0:1], vcc
	s_xor_b64 s[0:1], exec, s[0:1]
	s_cbranch_execz .LBB2_14
; %bb.11:
	v_cmp_eq_u32_e32 vcc, 3, v2
	s_and_saveexec_b64 s[4:5], vcc
	s_cbranch_execz .LBB2_13
; %bb.12:
	s_ashr_i32 s12, s2, 31
	s_lshr_b32 s12, s12, 30
	s_add_i32 s2, s2, s12
	s_mul_i32 s12, s19, s18
	s_ashr_i32 s2, s2, 2
	s_add_i32 s12, s17, s12
	s_add_i32 s2, s2, -1
	s_lshl_b32 s12, s12, 6
	s_cmp_eq_u32 s3, s2
	s_cselect_b64 vcc, -1, 0
	v_subrev_u32_e32 v0, 48, v10
	s_and_b64 s[2:3], vcc, exec
	v_cndmask_b32_e32 v0, v0, v10, vcc
	s_cselect_b32 s2, s16, s12
	v_add_u32_e32 v0, s2, v0
	v_mov_b32_e32 v1, 0
	v_lshlrev_b64 v[0:1], 3, v[0:1]
	v_mov_b32_e32 v2, s9
	v_add_co_u32_e32 v0, vcc, s8, v0
	v_addc_co_u32_e32 v1, vcc, v2, v1, vcc
	global_load_dwordx2 v[0:1], v[0:1], off
	s_waitcnt vmcnt(0)
	ds_write_b64 v12, v[0:1] offset:376
.LBB2_13:
	s_or_b64 exec, exec, s[4:5]
                                        ; implicit-def: $vgpr2
                                        ; implicit-def: $vgpr10
                                        ; implicit-def: $vgpr12
.LBB2_14:
	s_andn2_saveexec_b64 s[0:1], s[0:1]
	s_cbranch_execz .LBB2_18
; %bb.15:
	v_cmp_eq_u32_e32 vcc, 0, v2
	s_and_saveexec_b64 s[2:3], vcc
	s_cbranch_execz .LBB2_17
; %bb.16:
	s_mul_i32 s4, s19, s18
	s_sub_i32 s4, s17, s4
	s_lshl_b32 s12, s4, 6
	s_cmp_gt_u32 s19, s20
	s_cselect_b64 vcc, -1, 0
	v_add_u32_e32 v0, 48, v10
	s_and_b64 s[4:5], vcc, exec
	v_cndmask_b32_e32 v0, v0, v10, vcc
	s_cselect_b32 s4, s16, s12
	v_add_u32_e32 v0, s4, v0
	v_mov_b32_e32 v1, 0
	v_lshlrev_b64 v[0:1], 3, v[0:1]
	v_mov_b32_e32 v2, s9
	v_add_co_u32_e32 v0, vcc, s8, v0
	v_addc_co_u32_e32 v1, vcc, v2, v1, vcc
	global_load_dwordx2 v[0:1], v[0:1], off
	s_waitcnt vmcnt(0)
	ds_write_b64 v12, v[0:1] offset:336
.LBB2_17:
	s_or_b64 exec, exec, s[2:3]
.LBB2_18:
	s_or_b64 exec, exec, s[0:1]
	s_waitcnt vmcnt(0) lgkmcnt(0)
	s_barrier
	ds_read_b64 v[0:1], v11 offset:344
	v_and_b32_e32 v2, 1, v13
	v_cmp_eq_u32_e32 vcc, 1, v2
	s_waitcnt lgkmcnt(0)
	v_mov_b32_e32 v9, v1
	v_mov_b32_e32 v8, v0
	s_and_saveexec_b64 s[12:13], vcc
	s_cbranch_execz .LBB2_28
; %bb.19:
	ds_read2_b64 v[12:15], v11 offset0:49 offset1:79
	ds_read2_b64 v[16:19], v11 offset0:7 offset1:37
	;; [unrolled: 1-line block ×3, first 2 shown]
	s_mov_b32 s4, 0x78b58c40
	s_mov_b32 s5, 0x4415af1d
	s_waitcnt lgkmcnt(2)
	v_max_f64 v[14:15], v[14:15], v[14:15]
	s_waitcnt lgkmcnt(1)
	v_max_f64 v[16:17], v[16:17], v[16:17]
	v_max_f64 v[20:21], v[12:13], v[12:13]
	;; [unrolled: 1-line block ×3, first 2 shown]
	s_waitcnt lgkmcnt(0)
	v_max_f64 v[10:11], v[10:11], v[10:11]
	v_max_f64 v[8:9], v[8:9], v[8:9]
	v_min_f64 v[12:13], v[16:17], v[14:15]
	v_min_f64 v[14:15], v[18:19], v[20:21]
	;; [unrolled: 1-line block ×3, first 2 shown]
	v_mov_b32_e32 v9, s5
	v_mov_b32_e32 v8, s4
	v_cmp_lt_f64_e64 s[0:1], v[12:13], v[14:15]
	v_cndmask_b32_e64 v21, v15, v13, s[0:1]
	v_cndmask_b32_e64 v20, v14, v12, s[0:1]
	v_cmp_lt_f64_e64 s[2:3], v[20:21], v[18:19]
	v_cndmask_b32_e64 v11, v19, v21, s[2:3]
	v_cndmask_b32_e64 v10, v18, v20, s[2:3]
	v_cmp_gt_f64_e32 vcc, s[4:5], v[10:11]
	s_and_saveexec_b64 s[14:15], vcc
	s_cbranch_execz .LBB2_27
; %bb.20:
	v_div_scale_f64 v[8:9], s[4:5], v[6:7], v[6:7], 1.0
	v_cmp_lt_f64_e64 s[4:5], 0, v[6:7]
	v_cndmask_b32_e64 v19, v21, v19, s[2:3]
	v_cndmask_b32_e64 v18, v20, v18, s[2:3]
	v_rcp_f64_e32 v[16:17], v[8:9]
	v_fma_f64 v[22:23], -v[8:9], v[16:17], 1.0
	v_fma_f64 v[16:17], v[16:17], v[22:23], v[16:17]
	v_div_scale_f64 v[22:23], vcc, 1.0, v[6:7], 1.0
	v_fma_f64 v[24:25], -v[8:9], v[16:17], 1.0
	v_fma_f64 v[16:17], v[16:17], v[24:25], v[16:17]
	v_mul_f64 v[24:25], v[22:23], v[16:17]
	v_fma_f64 v[8:9], -v[8:9], v[24:25], v[22:23]
	v_div_fmas_f64 v[8:9], v[8:9], v[16:17], v[24:25]
	v_cndmask_b32_e64 v17, v13, v15, s[0:1]
	v_cndmask_b32_e64 v16, v12, v14, s[0:1]
	v_cmp_lt_f64_e32 vcc, v[16:17], v[18:19]
	v_cndmask_b32_e32 v15, v19, v17, vcc
	v_cndmask_b32_e32 v14, v18, v16, vcc
	v_div_fixup_f64 v[8:9], v[8:9], v[6:7], 1.0
	v_cndmask_b32_e64 v13, v7, v9, s[4:5]
	v_cndmask_b32_e64 v12, v6, v8, s[4:5]
	v_add_f64 v[8:9], v[12:13], v[10:11]
	v_cmp_gt_f64_e64 s[0:1], v[8:9], v[14:15]
	s_and_saveexec_b64 s[4:5], s[0:1]
	s_cbranch_execz .LBB2_26
; %bb.21:
	v_add_f64 v[6:7], v[14:15], -v[10:11]
	v_add_f64 v[20:21], v[12:13], v[12:13]
	s_mov_b32 s18, 0xf800000
	v_mul_f64 v[6:7], v[6:7], v[6:7]
	v_fma_f64 v[6:7], v[12:13], v[20:21], -v[6:7]
	v_cvt_f32_f64_e32 v2, v[6:7]
	v_mul_f32_e32 v6, 0x4f800000, v2
	v_cmp_gt_f32_e64 s[0:1], s18, v2
	v_cndmask_b32_e64 v20, v2, v6, s[0:1]
	v_sqrt_f32_e32 v21, v20
	v_add_f64 v[6:7], v[10:11], v[14:15]
	v_mov_b32_e32 v2, 0x260
	v_add_u32_e32 v22, -1, v21
	v_add_u32_e32 v23, 1, v21
	v_fma_f32 v24, -v22, v21, v20
	v_fma_f32 v25, -v23, v21, v20
	v_cmp_ge_f32_e64 s[2:3], 0, v24
	v_cndmask_b32_e64 v21, v21, v22, s[2:3]
	v_cmp_lt_f32_e64 s[2:3], 0, v25
	v_cndmask_b32_e64 v21, v21, v23, s[2:3]
	v_mul_f32_e32 v22, 0x37800000, v21
	v_cndmask_b32_e64 v21, v21, v22, s[0:1]
	v_cmp_class_f32_e64 s[0:1], v20, v2
	v_cndmask_b32_e64 v20, v21, v20, s[0:1]
	v_cvt_f64_f32_e32 v[20:21], v20
	v_add_f64 v[6:7], v[6:7], v[20:21]
	v_mul_f64 v[20:21], v[6:7], 0.5
	v_cndmask_b32_e32 v7, v17, v19, vcc
	v_cndmask_b32_e32 v6, v16, v18, vcc
	v_cmp_gt_f64_e64 s[0:1], v[20:21], v[14:15]
	v_cndmask_b32_e64 v9, v9, v21, s[0:1]
	v_cndmask_b32_e64 v8, v8, v20, s[0:1]
	v_cmp_gt_f64_e32 vcc, v[8:9], v[6:7]
	s_and_saveexec_b64 s[16:17], vcc
	s_cbranch_execz .LBB2_25
; %bb.22:
	v_add_f64 v[16:17], v[16:17], v[18:19]
	v_add_f64 v[18:19], v[10:11], -v[14:15]
	v_add_f64 v[20:21], v[14:15], -v[6:7]
	s_mov_b32 s20, 0
	s_mov_b32 s21, 0x40080000
	;; [unrolled: 1-line block ×3, first 2 shown]
	v_add_f64 v[16:17], v[10:11], v[16:17]
	v_mul_f64 v[14:15], v[14:15], v[18:19]
	v_add_f64 v[18:19], v[6:7], -v[10:11]
	v_div_scale_f64 v[22:23], s[0:1], s[20:21], s[20:21], v[16:17]
	v_fma_f64 v[14:15], v[6:7], v[20:21], v[14:15]
	v_fma_f64 v[10:11], v[10:11], v[18:19], v[14:15]
	v_mul_f64 v[14:15], v[12:13], s[20:21]
	v_rcp_f64_e32 v[18:19], v[22:23]
	v_add_f64 v[10:11], v[10:11], v[10:11]
	v_fma_f64 v[10:11], v[12:13], v[14:15], v[10:11]
	v_fma_f64 v[12:13], -v[22:23], v[18:19], 1.0
	v_cvt_f32_f64_e32 v10, v[10:11]
	v_mul_f32_e32 v11, 0x4f800000, v10
	v_cmp_gt_f32_e32 vcc, s18, v10
	v_cndmask_b32_e32 v20, v10, v11, vcc
	v_fma_f64 v[10:11], v[18:19], v[12:13], v[18:19]
	v_sqrt_f32_e32 v14, v20
	v_div_scale_f64 v[12:13], s[0:1], v[16:17], s[20:21], v[16:17]
	v_add_u32_e32 v15, -1, v14
	v_fma_f32 v19, -v15, v14, v20
	v_add_u32_e32 v18, 1, v14
	v_cmp_ge_f32_e64 s[2:3], 0, v19
	v_fma_f32 v21, -v18, v14, v20
	v_cndmask_b32_e64 v19, v14, v15, s[2:3]
	v_fma_f64 v[14:15], -v[22:23], v[10:11], 1.0
	v_cmp_lt_f32_e64 s[2:3], 0, v21
	v_cndmask_b32_e64 v18, v19, v18, s[2:3]
	v_mul_f32_e32 v19, 0x37800000, v18
	v_cndmask_b32_e32 v18, v18, v19, vcc
	v_cmp_class_f32_e32 vcc, v20, v2
	v_cndmask_b32_e32 v2, v18, v20, vcc
	v_div_scale_f32 v18, s[2:3], s19, s19, v2
	v_fma_f64 v[10:11], v[10:11], v[14:15], v[10:11]
	v_div_scale_f32 v19, s[2:3], v2, s19, v2
	s_mov_b64 vcc, s[0:1]
	v_mul_f64 v[14:15], v[12:13], v[10:11]
	v_rcp_f32_e32 v20, v18
	v_fma_f64 v[12:13], -v[22:23], v[14:15], v[12:13]
	v_fma_f32 v21, -v18, v20, 1.0
	v_fmac_f32_e32 v20, v21, v20
	v_mul_f32_e32 v21, v19, v20
	v_fma_f32 v22, -v18, v21, v19
	v_fmac_f32_e32 v21, v22, v20
	v_div_fmas_f64 v[10:11], v[12:13], v[10:11], v[14:15]
	v_fma_f32 v12, -v18, v21, v19
	s_mov_b64 vcc, s[2:3]
	v_div_fmas_f32 v12, v12, v20, v21
	v_div_fixup_f64 v[10:11], v[10:11], s[20:21], v[16:17]
	v_div_fixup_f32 v2, v12, s19, v2
	v_cvt_f64_f32_e32 v[12:13], v2
	v_add_f64 v[10:11], v[10:11], v[12:13]
	v_cmp_gt_f64_e32 vcc, v[10:11], v[6:7]
	s_and_saveexec_b64 s[0:1], vcc
; %bb.23:
	v_mov_b32_e32 v8, v10
	v_mov_b32_e32 v9, v11
; %bb.24:
	s_or_b64 exec, exec, s[0:1]
.LBB2_25:
	s_or_b64 exec, exec, s[16:17]
.LBB2_26:
	s_or_b64 exec, exec, s[4:5]
.LBB2_27:
	s_or_b64 exec, exec, s[14:15]
	v_max_f64 v[6:7], v[0:1], v[0:1]
	v_max_f64 v[8:9], v[8:9], v[8:9]
	v_mov_b32_e32 v2, s11
	v_add_co_u32_e32 v4, vcc, s10, v4
	v_addc_co_u32_e32 v5, vcc, v2, v5, vcc
	v_min_f64 v[8:9], v[8:9], v[6:7]
	global_store_dwordx2 v[4:5], v[8:9], off
.LBB2_28:
	s_or_b64 exec, exec, s[12:13]
	v_add_f64 v[0:1], v[0:1], -v[8:9]
	s_mov_b32 s0, 0x97d889bc
	v_mov_b32_e32 v2, s7
	v_add_co_u32_e32 v4, vcc, s6, v3
	s_mov_b32 s1, 0x3c9cd2b2
	v_addc_co_u32_e32 v5, vcc, 0, v2, vcc
	v_cmp_gt_f64_e32 vcc, s[0:1], v[0:1]
	s_mov_b64 s[12:13], 0
	v_cndmask_b32_e64 v0, 0, 1, vcc
	global_store_byte v[4:5], v0, off
.LBB2_29:
	s_and_b64 vcc, exec, s[12:13]
	s_cbranch_vccz .LBB2_31
; %bb.30:
	v_mov_b32_e32 v4, 0
	v_lshlrev_b64 v[0:1], 3, v[3:4]
	v_mov_b32_e32 v3, s9
	v_add_co_u32_e32 v2, vcc, s8, v0
	v_addc_co_u32_e32 v3, vcc, v3, v1, vcc
	global_load_dwordx2 v[2:3], v[2:3], off
	v_mov_b32_e32 v4, s11
	v_add_co_u32_e32 v0, vcc, s10, v0
	v_addc_co_u32_e32 v1, vcc, v4, v1, vcc
	s_waitcnt vmcnt(0)
	global_store_dwordx2 v[0:1], v[2:3], off
.LBB2_31:
	s_endpgm
.LBB2_32:
	v_cmp_eq_u32_e32 vcc, 3, v0
                                        ; implicit-def: $vgpr8
	s_and_saveexec_b64 s[12:13], vcc
	s_cbranch_execz .LBB2_34
; %bb.33:
	s_add_i32 s14, s18, -1
	s_add_i32 s22, s16, 64
	s_cmp_eq_u32 s21, s14
	s_cselect_b64 vcc, -1, 0
	v_add_u32_e32 v0, -3, v10
	s_and_b64 s[14:15], vcc, exec
	v_cndmask_b32_e32 v0, v0, v10, vcc
	s_cselect_b32 s14, s16, s22
	s_mov_b64 s[0:1], exec
	v_add_u32_e32 v8, s14, v0
.LBB2_34:
	s_or_b64 exec, exec, s[12:13]
	s_and_b64 s[0:1], s[0:1], exec
                                        ; implicit-def: $vgpr0
                                        ; implicit-def: $vgpr9
	s_or_saveexec_b64 s[4:5], s[4:5]
	v_mov_b32_e32 v17, 0x5a0
	s_xor_b64 exec, exec, s[4:5]
	s_cbranch_execz .LBB2_4
.LBB2_35:
	v_cmp_eq_u32_e32 vcc, 0, v0
	s_mov_b64 s[14:15], s[0:1]
                                        ; implicit-def: $vgpr8
	s_and_saveexec_b64 s[12:13], vcc
; %bb.36:
	s_sub_i32 s22, s16, 64
	s_cmp_eq_u32 s21, 0
	s_cselect_b64 vcc, -1, 0
	v_or_b32_e32 v0, 3, v9
	s_and_b64 s[14:15], vcc, exec
	v_cndmask_b32_e32 v0, v0, v10, vcc
	s_cselect_b32 s14, s16, s22
	v_add_u32_e32 v8, s14, v0
	s_or_b64 s[14:15], s[0:1], exec
; %bb.37:
	s_or_b64 exec, exec, s[12:13]
	s_andn2_b64 s[0:1], s[0:1], exec
	s_and_b64 s[12:13], s[14:15], exec
	v_mov_b32_e32 v17, 0
	s_or_b64 s[0:1], s[0:1], s[12:13]
	s_or_b64 exec, exec, s[4:5]
	v_lshlrev_b32_e32 v15, 3, v2
	s_and_saveexec_b64 s[4:5], s[0:1]
	s_cbranch_execnz .LBB2_5
	s_branch .LBB2_6
.LBB2_38:
	v_cmp_eq_u32_e32 vcc, 3, v1
                                        ; implicit-def: $vgpr0
	s_and_saveexec_b64 s[12:13], vcc
	s_cbranch_execz .LBB2_40
; %bb.39:
	s_add_i32 s15, s17, s18
	s_add_i32 s14, s19, -1
	s_lshl_b32 s22, s15, 6
	s_cmp_eq_u32 s21, s14
	s_cselect_b64 vcc, -1, 0
	v_add_u32_e32 v0, -12, v10
	s_and_b64 s[14:15], vcc, exec
	v_cndmask_b32_e32 v0, v0, v10, vcc
	s_cselect_b32 s14, s16, s22
	s_mov_b64 s[0:1], exec
	v_add_u32_e32 v0, s14, v0
.LBB2_40:
	s_or_b64 exec, exec, s[12:13]
	s_and_b64 s[0:1], s[0:1], exec
                                        ; implicit-def: $vgpr1
	s_or_saveexec_b64 s[4:5], s[4:5]
	v_mov_b32_e32 v8, 0x210
	s_xor_b64 exec, exec, s[4:5]
	s_cbranch_execz .LBB2_8
.LBB2_41:
	v_cmp_eq_u32_e32 vcc, 0, v1
	s_mov_b64 s[14:15], s[0:1]
                                        ; implicit-def: $vgpr0
	s_and_saveexec_b64 s[12:13], vcc
	s_cbranch_execz .LBB2_43
; %bb.42:
	s_sub_i32 s14, s17, s18
	s_lshl_b32 s22, s14, 6
	s_cmp_eq_u32 s21, 0
	s_cselect_b64 vcc, -1, 0
	v_add_u32_e32 v0, 12, v10
	s_and_b64 s[14:15], vcc, exec
	v_cndmask_b32_e32 v0, v0, v10, vcc
	s_cselect_b32 s14, s16, s22
	v_add_u32_e32 v0, s14, v0
	s_or_b64 s[14:15], s[0:1], exec
.LBB2_43:
	s_or_b64 exec, exec, s[12:13]
	s_andn2_b64 s[0:1], s[0:1], exec
	s_and_b64 s[12:13], s[14:15], exec
	v_mov_b32_e32 v8, 0x120
	s_or_b64 s[0:1], s[0:1], s[12:13]
	s_or_b64 exec, exec, s[4:5]
	s_and_saveexec_b64 s[4:5], s[0:1]
	s_cbranch_execnz .LBB2_9
	s_branch .LBB2_10
	.section	.rodata,"a",@progbits
	.p2align	6, 0x0
	.amdhsa_kernel _Z18run_check_neighborPKdPKbS0_PdPbPKjiiijj
		.amdhsa_group_segment_fixed_size 1728
		.amdhsa_private_segment_fixed_size 0
		.amdhsa_kernarg_size 328
		.amdhsa_user_sgpr_count 6
		.amdhsa_user_sgpr_private_segment_buffer 1
		.amdhsa_user_sgpr_dispatch_ptr 0
		.amdhsa_user_sgpr_queue_ptr 0
		.amdhsa_user_sgpr_kernarg_segment_ptr 1
		.amdhsa_user_sgpr_dispatch_id 0
		.amdhsa_user_sgpr_flat_scratch_init 0
		.amdhsa_user_sgpr_private_segment_size 0
		.amdhsa_uses_dynamic_stack 0
		.amdhsa_system_sgpr_private_segment_wavefront_offset 0
		.amdhsa_system_sgpr_workgroup_id_x 1
		.amdhsa_system_sgpr_workgroup_id_y 1
		.amdhsa_system_sgpr_workgroup_id_z 0
		.amdhsa_system_sgpr_workgroup_info 0
		.amdhsa_system_vgpr_workitem_id 2
		.amdhsa_next_free_vgpr 26
		.amdhsa_next_free_sgpr 23
		.amdhsa_reserve_vcc 1
		.amdhsa_reserve_flat_scratch 0
		.amdhsa_float_round_mode_32 0
		.amdhsa_float_round_mode_16_64 0
		.amdhsa_float_denorm_mode_32 3
		.amdhsa_float_denorm_mode_16_64 3
		.amdhsa_dx10_clamp 1
		.amdhsa_ieee_mode 1
		.amdhsa_fp16_overflow 0
		.amdhsa_exception_fp_ieee_invalid_op 0
		.amdhsa_exception_fp_denorm_src 0
		.amdhsa_exception_fp_ieee_div_zero 0
		.amdhsa_exception_fp_ieee_overflow 0
		.amdhsa_exception_fp_ieee_underflow 0
		.amdhsa_exception_fp_ieee_inexact 0
		.amdhsa_exception_int_div_zero 0
	.end_amdhsa_kernel
	.text
.Lfunc_end2:
	.size	_Z18run_check_neighborPKdPKbS0_PdPbPKjiiijj, .Lfunc_end2-_Z18run_check_neighborPKdPKbS0_PdPbPKjiiijj
                                        ; -- End function
	.set _Z18run_check_neighborPKdPKbS0_PdPbPKjiiijj.num_vgpr, 26
	.set _Z18run_check_neighborPKdPKbS0_PdPbPKjiiijj.num_agpr, 0
	.set _Z18run_check_neighborPKdPKbS0_PdPbPKjiiijj.numbered_sgpr, 23
	.set _Z18run_check_neighborPKdPKbS0_PdPbPKjiiijj.num_named_barrier, 0
	.set _Z18run_check_neighborPKdPKbS0_PdPbPKjiiijj.private_seg_size, 0
	.set _Z18run_check_neighborPKdPKbS0_PdPbPKjiiijj.uses_vcc, 1
	.set _Z18run_check_neighborPKdPKbS0_PdPbPKjiiijj.uses_flat_scratch, 0
	.set _Z18run_check_neighborPKdPKbS0_PdPbPKjiiijj.has_dyn_sized_stack, 0
	.set _Z18run_check_neighborPKdPKbS0_PdPbPKjiiijj.has_recursion, 0
	.set _Z18run_check_neighborPKdPKbS0_PdPbPKjiiijj.has_indirect_call, 0
	.section	.AMDGPU.csdata,"",@progbits
; Kernel info:
; codeLenInByte = 2540
; TotalNumSgprs: 27
; NumVgprs: 26
; ScratchSize: 0
; MemoryBound: 0
; FloatMode: 240
; IeeeMode: 1
; LDSByteSize: 1728 bytes/workgroup (compile time only)
; SGPRBlocks: 3
; VGPRBlocks: 6
; NumSGPRsForWavesPerEU: 27
; NumVGPRsForWavesPerEU: 26
; Occupancy: 9
; WaveLimiterHint : 1
; COMPUTE_PGM_RSRC2:SCRATCH_EN: 0
; COMPUTE_PGM_RSRC2:USER_SGPR: 6
; COMPUTE_PGM_RSRC2:TRAP_HANDLER: 0
; COMPUTE_PGM_RSRC2:TGID_X_EN: 1
; COMPUTE_PGM_RSRC2:TGID_Y_EN: 1
; COMPUTE_PGM_RSRC2:TGID_Z_EN: 0
; COMPUTE_PGM_RSRC2:TIDIG_COMP_CNT: 2
	.section	.AMDGPU.gpr_maximums,"",@progbits
	.set amdgpu.max_num_vgpr, 0
	.set amdgpu.max_num_agpr, 0
	.set amdgpu.max_num_sgpr, 0
	.section	.AMDGPU.csdata,"",@progbits
	.type	__hip_cuid_89efbcb0e9a9ccd7,@object ; @__hip_cuid_89efbcb0e9a9ccd7
	.section	.bss,"aw",@nobits
	.globl	__hip_cuid_89efbcb0e9a9ccd7
__hip_cuid_89efbcb0e9a9ccd7:
	.byte	0                               ; 0x0
	.size	__hip_cuid_89efbcb0e9a9ccd7, 1

	.ident	"AMD clang version 22.0.0git (https://github.com/RadeonOpenCompute/llvm-project roc-7.2.4 26084 f58b06dce1f9c15707c5f808fd002e18c2accf7e)"
	.section	".note.GNU-stack","",@progbits
	.addrsig
	.addrsig_sym __hip_cuid_89efbcb0e9a9ccd7
	.amdgpu_metadata
---
amdhsa.kernels:
  - .args:
      - .actual_access:  read_only
        .address_space:  global
        .offset:         0
        .size:           8
        .value_kind:     global_buffer
      - .actual_access:  read_only
        .address_space:  global
        .offset:         8
        .size:           8
        .value_kind:     global_buffer
      - .actual_access:  read_only
        .address_space:  global
        .offset:         16
        .size:           8
        .value_kind:     global_buffer
      - .actual_access:  write_only
        .address_space:  global
        .offset:         24
        .size:           8
        .value_kind:     global_buffer
      - .actual_access:  write_only
        .address_space:  global
        .offset:         32
        .size:           8
        .value_kind:     global_buffer
      - .actual_access:  read_only
        .address_space:  global
        .offset:         40
        .size:           8
        .value_kind:     global_buffer
      - .offset:         48
        .size:           4
        .value_kind:     by_value
      - .offset:         52
        .size:           4
        .value_kind:     by_value
      - .offset:         56
        .size:           4
        .value_kind:     by_value
      - .offset:         60
        .size:           4
        .value_kind:     by_value
      - .offset:         64
        .size:           4
        .value_kind:     by_value
      - .offset:         72
        .size:           4
        .value_kind:     hidden_block_count_x
      - .offset:         76
        .size:           4
        .value_kind:     hidden_block_count_y
      - .offset:         80
        .size:           4
        .value_kind:     hidden_block_count_z
      - .offset:         84
        .size:           2
        .value_kind:     hidden_group_size_x
      - .offset:         86
        .size:           2
        .value_kind:     hidden_group_size_y
      - .offset:         88
        .size:           2
        .value_kind:     hidden_group_size_z
      - .offset:         90
        .size:           2
        .value_kind:     hidden_remainder_x
      - .offset:         92
        .size:           2
        .value_kind:     hidden_remainder_y
      - .offset:         94
        .size:           2
        .value_kind:     hidden_remainder_z
      - .offset:         112
        .size:           8
        .value_kind:     hidden_global_offset_x
      - .offset:         120
        .size:           8
        .value_kind:     hidden_global_offset_y
      - .offset:         128
        .size:           8
        .value_kind:     hidden_global_offset_z
      - .offset:         136
        .size:           2
        .value_kind:     hidden_grid_dims
    .group_segment_fixed_size: 1728
    .kernarg_segment_align: 8
    .kernarg_segment_size: 328
    .language:       OpenCL C
    .language_version:
      - 2
      - 0
    .max_flat_workgroup_size: 1024
    .name:           _Z10run_solverPKdPKbS0_PdPbPKjiiiij
    .private_segment_fixed_size: 0
    .sgpr_count:     30
    .sgpr_spill_count: 0
    .symbol:         _Z10run_solverPKdPKbS0_PdPbPKjiiiij.kd
    .uniform_work_group_size: 1
    .uses_dynamic_stack: false
    .vgpr_count:     31
    .vgpr_spill_count: 0
    .wavefront_size: 64
  - .args:
      - .actual_access:  read_only
        .address_space:  global
        .offset:         0
        .size:           8
        .value_kind:     global_buffer
      - .actual_access:  write_only
        .address_space:  global
        .offset:         8
        .size:           8
        .value_kind:     global_buffer
      - .actual_access:  read_only
        .address_space:  global
        .offset:         16
        .size:           8
        .value_kind:     global_buffer
      - .offset:         24
        .size:           4
        .value_kind:     by_value
      - .offset:         32
        .size:           4
        .value_kind:     hidden_block_count_x
      - .offset:         36
        .size:           4
        .value_kind:     hidden_block_count_y
      - .offset:         40
        .size:           4
        .value_kind:     hidden_block_count_z
      - .offset:         44
        .size:           2
        .value_kind:     hidden_group_size_x
      - .offset:         46
        .size:           2
        .value_kind:     hidden_group_size_y
      - .offset:         48
        .size:           2
        .value_kind:     hidden_group_size_z
      - .offset:         50
        .size:           2
        .value_kind:     hidden_remainder_x
      - .offset:         52
        .size:           2
        .value_kind:     hidden_remainder_y
      - .offset:         54
        .size:           2
        .value_kind:     hidden_remainder_z
      - .offset:         72
        .size:           8
        .value_kind:     hidden_global_offset_x
      - .offset:         80
        .size:           8
        .value_kind:     hidden_global_offset_y
      - .offset:         88
        .size:           8
        .value_kind:     hidden_global_offset_z
      - .offset:         96
        .size:           2
        .value_kind:     hidden_grid_dims
    .group_segment_fixed_size: 64
    .kernarg_segment_align: 8
    .kernarg_segment_size: 288
    .language:       OpenCL C
    .language_version:
      - 2
      - 0
    .max_flat_workgroup_size: 1024
    .name:           _Z13run_reductionPKbPbPKjj
    .private_segment_fixed_size: 0
    .sgpr_count:     12
    .sgpr_spill_count: 0
    .symbol:         _Z13run_reductionPKbPbPKjj.kd
    .uniform_work_group_size: 1
    .uses_dynamic_stack: false
    .vgpr_count:     5
    .vgpr_spill_count: 0
    .wavefront_size: 64
  - .args:
      - .actual_access:  read_only
        .address_space:  global
        .offset:         0
        .size:           8
        .value_kind:     global_buffer
      - .actual_access:  read_only
        .address_space:  global
        .offset:         8
        .size:           8
        .value_kind:     global_buffer
      - .actual_access:  read_only
        .address_space:  global
        .offset:         16
        .size:           8
        .value_kind:     global_buffer
      - .actual_access:  write_only
        .address_space:  global
        .offset:         24
        .size:           8
        .value_kind:     global_buffer
      - .actual_access:  write_only
        .address_space:  global
        .offset:         32
        .size:           8
        .value_kind:     global_buffer
      - .actual_access:  read_only
        .address_space:  global
        .offset:         40
        .size:           8
        .value_kind:     global_buffer
      - .offset:         48
        .size:           4
        .value_kind:     by_value
      - .offset:         52
        .size:           4
        .value_kind:     by_value
      - .offset:         56
        .size:           4
        .value_kind:     by_value
      - .offset:         60
        .size:           4
        .value_kind:     by_value
      - .offset:         64
        .size:           4
        .value_kind:     by_value
      - .offset:         72
        .size:           4
        .value_kind:     hidden_block_count_x
      - .offset:         76
        .size:           4
        .value_kind:     hidden_block_count_y
      - .offset:         80
        .size:           4
        .value_kind:     hidden_block_count_z
      - .offset:         84
        .size:           2
        .value_kind:     hidden_group_size_x
      - .offset:         86
        .size:           2
        .value_kind:     hidden_group_size_y
      - .offset:         88
        .size:           2
        .value_kind:     hidden_group_size_z
      - .offset:         90
        .size:           2
        .value_kind:     hidden_remainder_x
      - .offset:         92
        .size:           2
        .value_kind:     hidden_remainder_y
      - .offset:         94
        .size:           2
        .value_kind:     hidden_remainder_z
      - .offset:         112
        .size:           8
        .value_kind:     hidden_global_offset_x
      - .offset:         120
        .size:           8
        .value_kind:     hidden_global_offset_y
      - .offset:         128
        .size:           8
        .value_kind:     hidden_global_offset_z
      - .offset:         136
        .size:           2
        .value_kind:     hidden_grid_dims
    .group_segment_fixed_size: 1728
    .kernarg_segment_align: 8
    .kernarg_segment_size: 328
    .language:       OpenCL C
    .language_version:
      - 2
      - 0
    .max_flat_workgroup_size: 1024
    .name:           _Z18run_check_neighborPKdPKbS0_PdPbPKjiiijj
    .private_segment_fixed_size: 0
    .sgpr_count:     27
    .sgpr_spill_count: 0
    .symbol:         _Z18run_check_neighborPKdPKbS0_PdPbPKjiiijj.kd
    .uniform_work_group_size: 1
    .uses_dynamic_stack: false
    .vgpr_count:     26
    .vgpr_spill_count: 0
    .wavefront_size: 64
amdhsa.target:   amdgcn-amd-amdhsa--gfx906
amdhsa.version:
  - 1
  - 2
...

	.end_amdgpu_metadata
